;; amdgpu-corpus repo=zjin-lcf/HeCBench kind=compiled arch=gfx1100 opt=O3
	.text
	.amdgcn_target "amdgcn-amd-amdhsa--gfx1100"
	.amdhsa_code_object_version 6
	.section	.text._Z18BlockAdjDiffKernelILi64EEvPKiPib,"axG",@progbits,_Z18BlockAdjDiffKernelILi64EEvPKiPib,comdat
	.protected	_Z18BlockAdjDiffKernelILi64EEvPKiPib ; -- Begin function _Z18BlockAdjDiffKernelILi64EEvPKiPib
	.globl	_Z18BlockAdjDiffKernelILi64EEvPKiPib
	.p2align	8
	.type	_Z18BlockAdjDiffKernelILi64EEvPKiPib,@function
_Z18BlockAdjDiffKernelILi64EEvPKiPib:   ; @_Z18BlockAdjDiffKernelILi64EEvPKiPib
; %bb.0:
	s_clause 0x2
	s_load_b32 s2, s[0:1], 0x24
	s_load_b128 s[4:7], s[0:1], 0x0
	s_load_b32 s0, s[0:1], 0x10
	v_lshlrev_b32_e32 v6, 2, v0
	s_waitcnt lgkmcnt(0)
	s_and_b32 s2, s2, 0xffff
	s_and_b32 s0, s0, 1
	v_mad_u64_u32 v[1:2], null, s15, s2, v[0:1]
	s_cmp_eq_u32 s0, 0
	s_delay_alu instid0(VALU_DEP_1) | instskip(NEXT) | instid1(VALU_DEP_1)
	v_ashrrev_i32_e32 v2, 31, v1
	v_lshlrev_b64 v[9:10], 4, v[1:2]
	s_delay_alu instid0(VALU_DEP_1) | instskip(NEXT) | instid1(VALU_DEP_2)
	v_add_co_u32 v1, vcc_lo, s4, v9
	v_add_co_ci_u32_e32 v2, vcc_lo, s5, v10, vcc_lo
	global_load_b128 v[1:4], v[1:2], off
	s_cbranch_scc0 .LBB0_4
; %bb.1:
	s_waitcnt vmcnt(0)
	v_mov_b32_e32 v8, v4
	s_mov_b32 s0, exec_lo
	ds_store_b32 v6, v1 offset:256
	s_waitcnt lgkmcnt(0)
	s_barrier
	buffer_gl0_inv
	v_cmpx_ne_u32_e32 63, v0
	s_cbranch_execz .LBB0_3
; %bb.2:
	ds_load_b32 v5, v6 offset:260
	s_waitcnt lgkmcnt(0)
	v_sub_nc_u32_e32 v8, v4, v5
.LBB0_3:
	s_or_b32 exec_lo, exec_lo, s0
	v_sub_nc_u32_e32 v5, v1, v2
	v_mov_b32_e32 v11, v3
	s_cbranch_execz .LBB0_5
	s_branch .LBB0_8
.LBB0_4:
                                        ; implicit-def: $vgpr8
	s_waitcnt vmcnt(0)
	v_mov_b32_e32 v11, v3
.LBB0_5:
	v_mov_b32_e32 v5, v1
	s_mov_b32 s0, exec_lo
	ds_store_b32 v6, v4
	s_waitcnt lgkmcnt(0)
	s_barrier
	buffer_gl0_inv
	v_cmpx_ne_u32_e32 0, v0
	s_cbranch_execz .LBB0_7
; %bb.6:
	v_add_nc_u32_e32 v0, -4, v6
	ds_load_b32 v0, v0
	s_waitcnt lgkmcnt(0)
	v_sub_nc_u32_e32 v5, v1, v0
.LBB0_7:
	s_or_b32 exec_lo, exec_lo, s0
	v_sub_nc_u32_e32 v8, v4, v3
	v_dual_mov_b32 v11, v1 :: v_dual_mov_b32 v4, v2
.LBB0_8:
	v_add_co_u32 v0, vcc_lo, s6, v9
	s_delay_alu instid0(VALU_DEP_2) | instskip(NEXT) | instid1(VALU_DEP_3)
	v_sub_nc_u32_e32 v7, v3, v4
	v_sub_nc_u32_e32 v6, v2, v11
	v_add_co_ci_u32_e32 v1, vcc_lo, s7, v10, vcc_lo
	global_store_b128 v[0:1], v[5:8], off
	s_nop 0
	s_sendmsg sendmsg(MSG_DEALLOC_VGPRS)
	s_endpgm
	.section	.rodata,"a",@progbits
	.p2align	6, 0x0
	.amdhsa_kernel _Z18BlockAdjDiffKernelILi64EEvPKiPib
		.amdhsa_group_segment_fixed_size 512
		.amdhsa_private_segment_fixed_size 0
		.amdhsa_kernarg_size 280
		.amdhsa_user_sgpr_count 15
		.amdhsa_user_sgpr_dispatch_ptr 0
		.amdhsa_user_sgpr_queue_ptr 0
		.amdhsa_user_sgpr_kernarg_segment_ptr 1
		.amdhsa_user_sgpr_dispatch_id 0
		.amdhsa_user_sgpr_private_segment_size 0
		.amdhsa_wavefront_size32 1
		.amdhsa_uses_dynamic_stack 0
		.amdhsa_enable_private_segment 0
		.amdhsa_system_sgpr_workgroup_id_x 1
		.amdhsa_system_sgpr_workgroup_id_y 0
		.amdhsa_system_sgpr_workgroup_id_z 0
		.amdhsa_system_sgpr_workgroup_info 0
		.amdhsa_system_vgpr_workitem_id 0
		.amdhsa_next_free_vgpr 12
		.amdhsa_next_free_sgpr 16
		.amdhsa_reserve_vcc 1
		.amdhsa_float_round_mode_32 0
		.amdhsa_float_round_mode_16_64 0
		.amdhsa_float_denorm_mode_32 3
		.amdhsa_float_denorm_mode_16_64 3
		.amdhsa_dx10_clamp 1
		.amdhsa_ieee_mode 1
		.amdhsa_fp16_overflow 0
		.amdhsa_workgroup_processor_mode 1
		.amdhsa_memory_ordered 1
		.amdhsa_forward_progress 0
		.amdhsa_shared_vgpr_count 0
		.amdhsa_exception_fp_ieee_invalid_op 0
		.amdhsa_exception_fp_denorm_src 0
		.amdhsa_exception_fp_ieee_div_zero 0
		.amdhsa_exception_fp_ieee_overflow 0
		.amdhsa_exception_fp_ieee_underflow 0
		.amdhsa_exception_fp_ieee_inexact 0
		.amdhsa_exception_int_div_zero 0
	.end_amdhsa_kernel
	.section	.text._Z18BlockAdjDiffKernelILi64EEvPKiPib,"axG",@progbits,_Z18BlockAdjDiffKernelILi64EEvPKiPib,comdat
.Lfunc_end0:
	.size	_Z18BlockAdjDiffKernelILi64EEvPKiPib, .Lfunc_end0-_Z18BlockAdjDiffKernelILi64EEvPKiPib
                                        ; -- End function
	.section	.AMDGPU.csdata,"",@progbits
; Kernel info:
; codeLenInByte = 312
; NumSgprs: 18
; NumVgprs: 12
; ScratchSize: 0
; MemoryBound: 0
; FloatMode: 240
; IeeeMode: 1
; LDSByteSize: 512 bytes/workgroup (compile time only)
; SGPRBlocks: 2
; VGPRBlocks: 1
; NumSGPRsForWavesPerEU: 18
; NumVGPRsForWavesPerEU: 12
; Occupancy: 16
; WaveLimiterHint : 0
; COMPUTE_PGM_RSRC2:SCRATCH_EN: 0
; COMPUTE_PGM_RSRC2:USER_SGPR: 15
; COMPUTE_PGM_RSRC2:TRAP_HANDLER: 0
; COMPUTE_PGM_RSRC2:TGID_X_EN: 1
; COMPUTE_PGM_RSRC2:TGID_Y_EN: 0
; COMPUTE_PGM_RSRC2:TGID_Z_EN: 0
; COMPUTE_PGM_RSRC2:TIDIG_COMP_CNT: 0
	.section	.text._Z18BlockAdjDiffKernelILi128EEvPKiPib,"axG",@progbits,_Z18BlockAdjDiffKernelILi128EEvPKiPib,comdat
	.protected	_Z18BlockAdjDiffKernelILi128EEvPKiPib ; -- Begin function _Z18BlockAdjDiffKernelILi128EEvPKiPib
	.globl	_Z18BlockAdjDiffKernelILi128EEvPKiPib
	.p2align	8
	.type	_Z18BlockAdjDiffKernelILi128EEvPKiPib,@function
_Z18BlockAdjDiffKernelILi128EEvPKiPib:  ; @_Z18BlockAdjDiffKernelILi128EEvPKiPib
; %bb.0:
	s_clause 0x2
	s_load_b32 s2, s[0:1], 0x24
	s_load_b128 s[4:7], s[0:1], 0x0
	s_load_b32 s0, s[0:1], 0x10
	v_lshlrev_b32_e32 v6, 2, v0
	s_waitcnt lgkmcnt(0)
	s_and_b32 s2, s2, 0xffff
	s_and_b32 s0, s0, 1
	v_mad_u64_u32 v[1:2], null, s15, s2, v[0:1]
	s_cmp_eq_u32 s0, 0
	s_delay_alu instid0(VALU_DEP_1) | instskip(NEXT) | instid1(VALU_DEP_1)
	v_ashrrev_i32_e32 v2, 31, v1
	v_lshlrev_b64 v[9:10], 4, v[1:2]
	s_delay_alu instid0(VALU_DEP_1) | instskip(NEXT) | instid1(VALU_DEP_2)
	v_add_co_u32 v1, vcc_lo, s4, v9
	v_add_co_ci_u32_e32 v2, vcc_lo, s5, v10, vcc_lo
	global_load_b128 v[1:4], v[1:2], off
	s_cbranch_scc0 .LBB1_4
; %bb.1:
	s_waitcnt vmcnt(0)
	v_mov_b32_e32 v8, v4
	s_mov_b32 s0, exec_lo
	ds_store_b32 v6, v1 offset:512
	s_waitcnt lgkmcnt(0)
	s_barrier
	buffer_gl0_inv
	v_cmpx_ne_u32_e32 0x7f, v0
	s_cbranch_execz .LBB1_3
; %bb.2:
	ds_load_b32 v5, v6 offset:516
	s_waitcnt lgkmcnt(0)
	v_sub_nc_u32_e32 v8, v4, v5
.LBB1_3:
	s_or_b32 exec_lo, exec_lo, s0
	v_sub_nc_u32_e32 v5, v1, v2
	v_mov_b32_e32 v11, v3
	s_cbranch_execz .LBB1_5
	s_branch .LBB1_8
.LBB1_4:
                                        ; implicit-def: $vgpr8
	s_waitcnt vmcnt(0)
	v_mov_b32_e32 v11, v3
.LBB1_5:
	v_mov_b32_e32 v5, v1
	s_mov_b32 s0, exec_lo
	ds_store_b32 v6, v4
	s_waitcnt lgkmcnt(0)
	s_barrier
	buffer_gl0_inv
	v_cmpx_ne_u32_e32 0, v0
	s_cbranch_execz .LBB1_7
; %bb.6:
	v_add_nc_u32_e32 v0, -4, v6
	ds_load_b32 v0, v0
	s_waitcnt lgkmcnt(0)
	v_sub_nc_u32_e32 v5, v1, v0
.LBB1_7:
	s_or_b32 exec_lo, exec_lo, s0
	v_sub_nc_u32_e32 v8, v4, v3
	v_dual_mov_b32 v11, v1 :: v_dual_mov_b32 v4, v2
.LBB1_8:
	v_add_co_u32 v0, vcc_lo, s6, v9
	s_delay_alu instid0(VALU_DEP_2) | instskip(NEXT) | instid1(VALU_DEP_3)
	v_sub_nc_u32_e32 v7, v3, v4
	v_sub_nc_u32_e32 v6, v2, v11
	v_add_co_ci_u32_e32 v1, vcc_lo, s7, v10, vcc_lo
	global_store_b128 v[0:1], v[5:8], off
	s_nop 0
	s_sendmsg sendmsg(MSG_DEALLOC_VGPRS)
	s_endpgm
	.section	.rodata,"a",@progbits
	.p2align	6, 0x0
	.amdhsa_kernel _Z18BlockAdjDiffKernelILi128EEvPKiPib
		.amdhsa_group_segment_fixed_size 1024
		.amdhsa_private_segment_fixed_size 0
		.amdhsa_kernarg_size 280
		.amdhsa_user_sgpr_count 15
		.amdhsa_user_sgpr_dispatch_ptr 0
		.amdhsa_user_sgpr_queue_ptr 0
		.amdhsa_user_sgpr_kernarg_segment_ptr 1
		.amdhsa_user_sgpr_dispatch_id 0
		.amdhsa_user_sgpr_private_segment_size 0
		.amdhsa_wavefront_size32 1
		.amdhsa_uses_dynamic_stack 0
		.amdhsa_enable_private_segment 0
		.amdhsa_system_sgpr_workgroup_id_x 1
		.amdhsa_system_sgpr_workgroup_id_y 0
		.amdhsa_system_sgpr_workgroup_id_z 0
		.amdhsa_system_sgpr_workgroup_info 0
		.amdhsa_system_vgpr_workitem_id 0
		.amdhsa_next_free_vgpr 12
		.amdhsa_next_free_sgpr 16
		.amdhsa_reserve_vcc 1
		.amdhsa_float_round_mode_32 0
		.amdhsa_float_round_mode_16_64 0
		.amdhsa_float_denorm_mode_32 3
		.amdhsa_float_denorm_mode_16_64 3
		.amdhsa_dx10_clamp 1
		.amdhsa_ieee_mode 1
		.amdhsa_fp16_overflow 0
		.amdhsa_workgroup_processor_mode 1
		.amdhsa_memory_ordered 1
		.amdhsa_forward_progress 0
		.amdhsa_shared_vgpr_count 0
		.amdhsa_exception_fp_ieee_invalid_op 0
		.amdhsa_exception_fp_denorm_src 0
		.amdhsa_exception_fp_ieee_div_zero 0
		.amdhsa_exception_fp_ieee_overflow 0
		.amdhsa_exception_fp_ieee_underflow 0
		.amdhsa_exception_fp_ieee_inexact 0
		.amdhsa_exception_int_div_zero 0
	.end_amdhsa_kernel
	.section	.text._Z18BlockAdjDiffKernelILi128EEvPKiPib,"axG",@progbits,_Z18BlockAdjDiffKernelILi128EEvPKiPib,comdat
.Lfunc_end1:
	.size	_Z18BlockAdjDiffKernelILi128EEvPKiPib, .Lfunc_end1-_Z18BlockAdjDiffKernelILi128EEvPKiPib
                                        ; -- End function
	.section	.AMDGPU.csdata,"",@progbits
; Kernel info:
; codeLenInByte = 316
; NumSgprs: 18
; NumVgprs: 12
; ScratchSize: 0
; MemoryBound: 0
; FloatMode: 240
; IeeeMode: 1
; LDSByteSize: 1024 bytes/workgroup (compile time only)
; SGPRBlocks: 2
; VGPRBlocks: 1
; NumSGPRsForWavesPerEU: 18
; NumVGPRsForWavesPerEU: 12
; Occupancy: 16
; WaveLimiterHint : 0
; COMPUTE_PGM_RSRC2:SCRATCH_EN: 0
; COMPUTE_PGM_RSRC2:USER_SGPR: 15
; COMPUTE_PGM_RSRC2:TRAP_HANDLER: 0
; COMPUTE_PGM_RSRC2:TGID_X_EN: 1
; COMPUTE_PGM_RSRC2:TGID_Y_EN: 0
; COMPUTE_PGM_RSRC2:TGID_Z_EN: 0
; COMPUTE_PGM_RSRC2:TIDIG_COMP_CNT: 0
	.section	.text._Z18BlockAdjDiffKernelILi256EEvPKiPib,"axG",@progbits,_Z18BlockAdjDiffKernelILi256EEvPKiPib,comdat
	.protected	_Z18BlockAdjDiffKernelILi256EEvPKiPib ; -- Begin function _Z18BlockAdjDiffKernelILi256EEvPKiPib
	.globl	_Z18BlockAdjDiffKernelILi256EEvPKiPib
	.p2align	8
	.type	_Z18BlockAdjDiffKernelILi256EEvPKiPib,@function
_Z18BlockAdjDiffKernelILi256EEvPKiPib:  ; @_Z18BlockAdjDiffKernelILi256EEvPKiPib
; %bb.0:
	s_clause 0x2
	s_load_b32 s2, s[0:1], 0x24
	s_load_b128 s[4:7], s[0:1], 0x0
	s_load_b32 s0, s[0:1], 0x10
	v_lshlrev_b32_e32 v6, 2, v0
	s_waitcnt lgkmcnt(0)
	s_and_b32 s2, s2, 0xffff
	s_and_b32 s0, s0, 1
	v_mad_u64_u32 v[1:2], null, s15, s2, v[0:1]
	s_cmp_eq_u32 s0, 0
	s_delay_alu instid0(VALU_DEP_1) | instskip(NEXT) | instid1(VALU_DEP_1)
	v_ashrrev_i32_e32 v2, 31, v1
	v_lshlrev_b64 v[9:10], 4, v[1:2]
	s_delay_alu instid0(VALU_DEP_1) | instskip(NEXT) | instid1(VALU_DEP_2)
	v_add_co_u32 v1, vcc_lo, s4, v9
	v_add_co_ci_u32_e32 v2, vcc_lo, s5, v10, vcc_lo
	global_load_b128 v[1:4], v[1:2], off
	s_cbranch_scc0 .LBB2_4
; %bb.1:
	s_waitcnt vmcnt(0)
	v_mov_b32_e32 v8, v4
	s_mov_b32 s0, exec_lo
	ds_store_b32 v6, v1 offset:1024
	s_waitcnt lgkmcnt(0)
	s_barrier
	buffer_gl0_inv
	v_cmpx_ne_u32_e32 0xff, v0
	s_cbranch_execz .LBB2_3
; %bb.2:
	ds_load_b32 v5, v6 offset:1028
	s_waitcnt lgkmcnt(0)
	v_sub_nc_u32_e32 v8, v4, v5
.LBB2_3:
	s_or_b32 exec_lo, exec_lo, s0
	v_sub_nc_u32_e32 v5, v1, v2
	v_mov_b32_e32 v11, v3
	s_cbranch_execz .LBB2_5
	s_branch .LBB2_8
.LBB2_4:
                                        ; implicit-def: $vgpr8
	s_waitcnt vmcnt(0)
	v_mov_b32_e32 v11, v3
.LBB2_5:
	v_mov_b32_e32 v5, v1
	s_mov_b32 s0, exec_lo
	ds_store_b32 v6, v4
	s_waitcnt lgkmcnt(0)
	s_barrier
	buffer_gl0_inv
	v_cmpx_ne_u32_e32 0, v0
	s_cbranch_execz .LBB2_7
; %bb.6:
	v_add_nc_u32_e32 v0, -4, v6
	ds_load_b32 v0, v0
	s_waitcnt lgkmcnt(0)
	v_sub_nc_u32_e32 v5, v1, v0
.LBB2_7:
	s_or_b32 exec_lo, exec_lo, s0
	v_sub_nc_u32_e32 v8, v4, v3
	v_dual_mov_b32 v11, v1 :: v_dual_mov_b32 v4, v2
.LBB2_8:
	v_add_co_u32 v0, vcc_lo, s6, v9
	s_delay_alu instid0(VALU_DEP_2) | instskip(NEXT) | instid1(VALU_DEP_3)
	v_sub_nc_u32_e32 v7, v3, v4
	v_sub_nc_u32_e32 v6, v2, v11
	v_add_co_ci_u32_e32 v1, vcc_lo, s7, v10, vcc_lo
	global_store_b128 v[0:1], v[5:8], off
	s_nop 0
	s_sendmsg sendmsg(MSG_DEALLOC_VGPRS)
	s_endpgm
	.section	.rodata,"a",@progbits
	.p2align	6, 0x0
	.amdhsa_kernel _Z18BlockAdjDiffKernelILi256EEvPKiPib
		.amdhsa_group_segment_fixed_size 2048
		.amdhsa_private_segment_fixed_size 0
		.amdhsa_kernarg_size 280
		.amdhsa_user_sgpr_count 15
		.amdhsa_user_sgpr_dispatch_ptr 0
		.amdhsa_user_sgpr_queue_ptr 0
		.amdhsa_user_sgpr_kernarg_segment_ptr 1
		.amdhsa_user_sgpr_dispatch_id 0
		.amdhsa_user_sgpr_private_segment_size 0
		.amdhsa_wavefront_size32 1
		.amdhsa_uses_dynamic_stack 0
		.amdhsa_enable_private_segment 0
		.amdhsa_system_sgpr_workgroup_id_x 1
		.amdhsa_system_sgpr_workgroup_id_y 0
		.amdhsa_system_sgpr_workgroup_id_z 0
		.amdhsa_system_sgpr_workgroup_info 0
		.amdhsa_system_vgpr_workitem_id 0
		.amdhsa_next_free_vgpr 12
		.amdhsa_next_free_sgpr 16
		.amdhsa_reserve_vcc 1
		.amdhsa_float_round_mode_32 0
		.amdhsa_float_round_mode_16_64 0
		.amdhsa_float_denorm_mode_32 3
		.amdhsa_float_denorm_mode_16_64 3
		.amdhsa_dx10_clamp 1
		.amdhsa_ieee_mode 1
		.amdhsa_fp16_overflow 0
		.amdhsa_workgroup_processor_mode 1
		.amdhsa_memory_ordered 1
		.amdhsa_forward_progress 0
		.amdhsa_shared_vgpr_count 0
		.amdhsa_exception_fp_ieee_invalid_op 0
		.amdhsa_exception_fp_denorm_src 0
		.amdhsa_exception_fp_ieee_div_zero 0
		.amdhsa_exception_fp_ieee_overflow 0
		.amdhsa_exception_fp_ieee_underflow 0
		.amdhsa_exception_fp_ieee_inexact 0
		.amdhsa_exception_int_div_zero 0
	.end_amdhsa_kernel
	.section	.text._Z18BlockAdjDiffKernelILi256EEvPKiPib,"axG",@progbits,_Z18BlockAdjDiffKernelILi256EEvPKiPib,comdat
.Lfunc_end2:
	.size	_Z18BlockAdjDiffKernelILi256EEvPKiPib, .Lfunc_end2-_Z18BlockAdjDiffKernelILi256EEvPKiPib
                                        ; -- End function
	.section	.AMDGPU.csdata,"",@progbits
; Kernel info:
; codeLenInByte = 316
; NumSgprs: 18
; NumVgprs: 12
; ScratchSize: 0
; MemoryBound: 0
; FloatMode: 240
; IeeeMode: 1
; LDSByteSize: 2048 bytes/workgroup (compile time only)
; SGPRBlocks: 2
; VGPRBlocks: 1
; NumSGPRsForWavesPerEU: 18
; NumVGPRsForWavesPerEU: 12
; Occupancy: 16
; WaveLimiterHint : 0
; COMPUTE_PGM_RSRC2:SCRATCH_EN: 0
; COMPUTE_PGM_RSRC2:USER_SGPR: 15
; COMPUTE_PGM_RSRC2:TRAP_HANDLER: 0
; COMPUTE_PGM_RSRC2:TGID_X_EN: 1
; COMPUTE_PGM_RSRC2:TGID_Y_EN: 0
; COMPUTE_PGM_RSRC2:TGID_Z_EN: 0
; COMPUTE_PGM_RSRC2:TIDIG_COMP_CNT: 0
	.section	.text._Z18BlockAdjDiffKernelILi512EEvPKiPib,"axG",@progbits,_Z18BlockAdjDiffKernelILi512EEvPKiPib,comdat
	.protected	_Z18BlockAdjDiffKernelILi512EEvPKiPib ; -- Begin function _Z18BlockAdjDiffKernelILi512EEvPKiPib
	.globl	_Z18BlockAdjDiffKernelILi512EEvPKiPib
	.p2align	8
	.type	_Z18BlockAdjDiffKernelILi512EEvPKiPib,@function
_Z18BlockAdjDiffKernelILi512EEvPKiPib:  ; @_Z18BlockAdjDiffKernelILi512EEvPKiPib
; %bb.0:
	s_clause 0x2
	s_load_b32 s2, s[0:1], 0x24
	s_load_b128 s[4:7], s[0:1], 0x0
	s_load_b32 s0, s[0:1], 0x10
	v_lshlrev_b32_e32 v6, 2, v0
	s_waitcnt lgkmcnt(0)
	s_and_b32 s2, s2, 0xffff
	s_and_b32 s0, s0, 1
	v_mad_u64_u32 v[1:2], null, s15, s2, v[0:1]
	s_cmp_eq_u32 s0, 0
	s_delay_alu instid0(VALU_DEP_1) | instskip(NEXT) | instid1(VALU_DEP_1)
	v_ashrrev_i32_e32 v2, 31, v1
	v_lshlrev_b64 v[9:10], 4, v[1:2]
	s_delay_alu instid0(VALU_DEP_1) | instskip(NEXT) | instid1(VALU_DEP_2)
	v_add_co_u32 v1, vcc_lo, s4, v9
	v_add_co_ci_u32_e32 v2, vcc_lo, s5, v10, vcc_lo
	global_load_b128 v[1:4], v[1:2], off
	s_cbranch_scc0 .LBB3_4
; %bb.1:
	s_waitcnt vmcnt(0)
	v_mov_b32_e32 v8, v4
	s_mov_b32 s0, exec_lo
	ds_store_b32 v6, v1 offset:2048
	s_waitcnt lgkmcnt(0)
	s_barrier
	buffer_gl0_inv
	v_cmpx_ne_u32_e32 0x1ff, v0
	s_cbranch_execz .LBB3_3
; %bb.2:
	ds_load_b32 v5, v6 offset:2052
	s_waitcnt lgkmcnt(0)
	v_sub_nc_u32_e32 v8, v4, v5
.LBB3_3:
	s_or_b32 exec_lo, exec_lo, s0
	v_sub_nc_u32_e32 v5, v1, v2
	v_mov_b32_e32 v11, v3
	s_cbranch_execz .LBB3_5
	s_branch .LBB3_8
.LBB3_4:
                                        ; implicit-def: $vgpr8
	s_waitcnt vmcnt(0)
	v_mov_b32_e32 v11, v3
.LBB3_5:
	v_mov_b32_e32 v5, v1
	s_mov_b32 s0, exec_lo
	ds_store_b32 v6, v4
	s_waitcnt lgkmcnt(0)
	s_barrier
	buffer_gl0_inv
	v_cmpx_ne_u32_e32 0, v0
	s_cbranch_execz .LBB3_7
; %bb.6:
	v_add_nc_u32_e32 v0, -4, v6
	ds_load_b32 v0, v0
	s_waitcnt lgkmcnt(0)
	v_sub_nc_u32_e32 v5, v1, v0
.LBB3_7:
	s_or_b32 exec_lo, exec_lo, s0
	v_sub_nc_u32_e32 v8, v4, v3
	v_dual_mov_b32 v11, v1 :: v_dual_mov_b32 v4, v2
.LBB3_8:
	v_add_co_u32 v0, vcc_lo, s6, v9
	s_delay_alu instid0(VALU_DEP_2) | instskip(NEXT) | instid1(VALU_DEP_3)
	v_sub_nc_u32_e32 v7, v3, v4
	v_sub_nc_u32_e32 v6, v2, v11
	v_add_co_ci_u32_e32 v1, vcc_lo, s7, v10, vcc_lo
	global_store_b128 v[0:1], v[5:8], off
	s_nop 0
	s_sendmsg sendmsg(MSG_DEALLOC_VGPRS)
	s_endpgm
	.section	.rodata,"a",@progbits
	.p2align	6, 0x0
	.amdhsa_kernel _Z18BlockAdjDiffKernelILi512EEvPKiPib
		.amdhsa_group_segment_fixed_size 4096
		.amdhsa_private_segment_fixed_size 0
		.amdhsa_kernarg_size 280
		.amdhsa_user_sgpr_count 15
		.amdhsa_user_sgpr_dispatch_ptr 0
		.amdhsa_user_sgpr_queue_ptr 0
		.amdhsa_user_sgpr_kernarg_segment_ptr 1
		.amdhsa_user_sgpr_dispatch_id 0
		.amdhsa_user_sgpr_private_segment_size 0
		.amdhsa_wavefront_size32 1
		.amdhsa_uses_dynamic_stack 0
		.amdhsa_enable_private_segment 0
		.amdhsa_system_sgpr_workgroup_id_x 1
		.amdhsa_system_sgpr_workgroup_id_y 0
		.amdhsa_system_sgpr_workgroup_id_z 0
		.amdhsa_system_sgpr_workgroup_info 0
		.amdhsa_system_vgpr_workitem_id 0
		.amdhsa_next_free_vgpr 12
		.amdhsa_next_free_sgpr 16
		.amdhsa_reserve_vcc 1
		.amdhsa_float_round_mode_32 0
		.amdhsa_float_round_mode_16_64 0
		.amdhsa_float_denorm_mode_32 3
		.amdhsa_float_denorm_mode_16_64 3
		.amdhsa_dx10_clamp 1
		.amdhsa_ieee_mode 1
		.amdhsa_fp16_overflow 0
		.amdhsa_workgroup_processor_mode 1
		.amdhsa_memory_ordered 1
		.amdhsa_forward_progress 0
		.amdhsa_shared_vgpr_count 0
		.amdhsa_exception_fp_ieee_invalid_op 0
		.amdhsa_exception_fp_denorm_src 0
		.amdhsa_exception_fp_ieee_div_zero 0
		.amdhsa_exception_fp_ieee_overflow 0
		.amdhsa_exception_fp_ieee_underflow 0
		.amdhsa_exception_fp_ieee_inexact 0
		.amdhsa_exception_int_div_zero 0
	.end_amdhsa_kernel
	.section	.text._Z18BlockAdjDiffKernelILi512EEvPKiPib,"axG",@progbits,_Z18BlockAdjDiffKernelILi512EEvPKiPib,comdat
.Lfunc_end3:
	.size	_Z18BlockAdjDiffKernelILi512EEvPKiPib, .Lfunc_end3-_Z18BlockAdjDiffKernelILi512EEvPKiPib
                                        ; -- End function
	.section	.AMDGPU.csdata,"",@progbits
; Kernel info:
; codeLenInByte = 316
; NumSgprs: 18
; NumVgprs: 12
; ScratchSize: 0
; MemoryBound: 0
; FloatMode: 240
; IeeeMode: 1
; LDSByteSize: 4096 bytes/workgroup (compile time only)
; SGPRBlocks: 2
; VGPRBlocks: 1
; NumSGPRsForWavesPerEU: 18
; NumVGPRsForWavesPerEU: 12
; Occupancy: 16
; WaveLimiterHint : 0
; COMPUTE_PGM_RSRC2:SCRATCH_EN: 0
; COMPUTE_PGM_RSRC2:USER_SGPR: 15
; COMPUTE_PGM_RSRC2:TRAP_HANDLER: 0
; COMPUTE_PGM_RSRC2:TGID_X_EN: 1
; COMPUTE_PGM_RSRC2:TGID_Y_EN: 0
; COMPUTE_PGM_RSRC2:TGID_Z_EN: 0
; COMPUTE_PGM_RSRC2:TIDIG_COMP_CNT: 0
	.section	.text._Z18BlockAdjDiffKernelILi1024EEvPKiPib,"axG",@progbits,_Z18BlockAdjDiffKernelILi1024EEvPKiPib,comdat
	.protected	_Z18BlockAdjDiffKernelILi1024EEvPKiPib ; -- Begin function _Z18BlockAdjDiffKernelILi1024EEvPKiPib
	.globl	_Z18BlockAdjDiffKernelILi1024EEvPKiPib
	.p2align	8
	.type	_Z18BlockAdjDiffKernelILi1024EEvPKiPib,@function
_Z18BlockAdjDiffKernelILi1024EEvPKiPib: ; @_Z18BlockAdjDiffKernelILi1024EEvPKiPib
; %bb.0:
	s_clause 0x2
	s_load_b32 s2, s[0:1], 0x24
	s_load_b128 s[4:7], s[0:1], 0x0
	s_load_b32 s0, s[0:1], 0x10
	v_lshlrev_b32_e32 v6, 2, v0
	s_waitcnt lgkmcnt(0)
	s_and_b32 s2, s2, 0xffff
	s_and_b32 s0, s0, 1
	v_mad_u64_u32 v[1:2], null, s15, s2, v[0:1]
	s_cmp_eq_u32 s0, 0
	s_delay_alu instid0(VALU_DEP_1) | instskip(NEXT) | instid1(VALU_DEP_1)
	v_ashrrev_i32_e32 v2, 31, v1
	v_lshlrev_b64 v[9:10], 4, v[1:2]
	s_delay_alu instid0(VALU_DEP_1) | instskip(NEXT) | instid1(VALU_DEP_2)
	v_add_co_u32 v1, vcc_lo, s4, v9
	v_add_co_ci_u32_e32 v2, vcc_lo, s5, v10, vcc_lo
	global_load_b128 v[1:4], v[1:2], off
	s_cbranch_scc0 .LBB4_4
; %bb.1:
	s_waitcnt vmcnt(0)
	v_mov_b32_e32 v8, v4
	s_mov_b32 s0, exec_lo
	ds_store_b32 v6, v1 offset:4096
	s_waitcnt lgkmcnt(0)
	s_barrier
	buffer_gl0_inv
	v_cmpx_ne_u32_e32 0x3ff, v0
	s_cbranch_execz .LBB4_3
; %bb.2:
	ds_load_b32 v5, v6 offset:4100
	s_waitcnt lgkmcnt(0)
	v_sub_nc_u32_e32 v8, v4, v5
.LBB4_3:
	s_or_b32 exec_lo, exec_lo, s0
	v_sub_nc_u32_e32 v5, v1, v2
	v_mov_b32_e32 v11, v3
	s_cbranch_execz .LBB4_5
	s_branch .LBB4_8
.LBB4_4:
                                        ; implicit-def: $vgpr8
	s_waitcnt vmcnt(0)
	v_mov_b32_e32 v11, v3
.LBB4_5:
	v_mov_b32_e32 v5, v1
	s_mov_b32 s0, exec_lo
	ds_store_b32 v6, v4
	s_waitcnt lgkmcnt(0)
	s_barrier
	buffer_gl0_inv
	v_cmpx_ne_u32_e32 0, v0
	s_cbranch_execz .LBB4_7
; %bb.6:
	v_add_nc_u32_e32 v0, -4, v6
	ds_load_b32 v0, v0
	s_waitcnt lgkmcnt(0)
	v_sub_nc_u32_e32 v5, v1, v0
.LBB4_7:
	s_or_b32 exec_lo, exec_lo, s0
	v_sub_nc_u32_e32 v8, v4, v3
	v_dual_mov_b32 v11, v1 :: v_dual_mov_b32 v4, v2
.LBB4_8:
	v_add_co_u32 v0, vcc_lo, s6, v9
	s_delay_alu instid0(VALU_DEP_2) | instskip(NEXT) | instid1(VALU_DEP_3)
	v_sub_nc_u32_e32 v7, v3, v4
	v_sub_nc_u32_e32 v6, v2, v11
	v_add_co_ci_u32_e32 v1, vcc_lo, s7, v10, vcc_lo
	global_store_b128 v[0:1], v[5:8], off
	s_nop 0
	s_sendmsg sendmsg(MSG_DEALLOC_VGPRS)
	s_endpgm
	.section	.rodata,"a",@progbits
	.p2align	6, 0x0
	.amdhsa_kernel _Z18BlockAdjDiffKernelILi1024EEvPKiPib
		.amdhsa_group_segment_fixed_size 8192
		.amdhsa_private_segment_fixed_size 0
		.amdhsa_kernarg_size 280
		.amdhsa_user_sgpr_count 15
		.amdhsa_user_sgpr_dispatch_ptr 0
		.amdhsa_user_sgpr_queue_ptr 0
		.amdhsa_user_sgpr_kernarg_segment_ptr 1
		.amdhsa_user_sgpr_dispatch_id 0
		.amdhsa_user_sgpr_private_segment_size 0
		.amdhsa_wavefront_size32 1
		.amdhsa_uses_dynamic_stack 0
		.amdhsa_enable_private_segment 0
		.amdhsa_system_sgpr_workgroup_id_x 1
		.amdhsa_system_sgpr_workgroup_id_y 0
		.amdhsa_system_sgpr_workgroup_id_z 0
		.amdhsa_system_sgpr_workgroup_info 0
		.amdhsa_system_vgpr_workitem_id 0
		.amdhsa_next_free_vgpr 12
		.amdhsa_next_free_sgpr 16
		.amdhsa_reserve_vcc 1
		.amdhsa_float_round_mode_32 0
		.amdhsa_float_round_mode_16_64 0
		.amdhsa_float_denorm_mode_32 3
		.amdhsa_float_denorm_mode_16_64 3
		.amdhsa_dx10_clamp 1
		.amdhsa_ieee_mode 1
		.amdhsa_fp16_overflow 0
		.amdhsa_workgroup_processor_mode 1
		.amdhsa_memory_ordered 1
		.amdhsa_forward_progress 0
		.amdhsa_shared_vgpr_count 0
		.amdhsa_exception_fp_ieee_invalid_op 0
		.amdhsa_exception_fp_denorm_src 0
		.amdhsa_exception_fp_ieee_div_zero 0
		.amdhsa_exception_fp_ieee_overflow 0
		.amdhsa_exception_fp_ieee_underflow 0
		.amdhsa_exception_fp_ieee_inexact 0
		.amdhsa_exception_int_div_zero 0
	.end_amdhsa_kernel
	.section	.text._Z18BlockAdjDiffKernelILi1024EEvPKiPib,"axG",@progbits,_Z18BlockAdjDiffKernelILi1024EEvPKiPib,comdat
.Lfunc_end4:
	.size	_Z18BlockAdjDiffKernelILi1024EEvPKiPib, .Lfunc_end4-_Z18BlockAdjDiffKernelILi1024EEvPKiPib
                                        ; -- End function
	.section	.AMDGPU.csdata,"",@progbits
; Kernel info:
; codeLenInByte = 316
; NumSgprs: 18
; NumVgprs: 12
; ScratchSize: 0
; MemoryBound: 0
; FloatMode: 240
; IeeeMode: 1
; LDSByteSize: 8192 bytes/workgroup (compile time only)
; SGPRBlocks: 2
; VGPRBlocks: 1
; NumSGPRsForWavesPerEU: 18
; NumVGPRsForWavesPerEU: 12
; Occupancy: 16
; WaveLimiterHint : 0
; COMPUTE_PGM_RSRC2:SCRATCH_EN: 0
; COMPUTE_PGM_RSRC2:USER_SGPR: 15
; COMPUTE_PGM_RSRC2:TRAP_HANDLER: 0
; COMPUTE_PGM_RSRC2:TGID_X_EN: 1
; COMPUTE_PGM_RSRC2:TGID_Y_EN: 0
; COMPUTE_PGM_RSRC2:TGID_Z_EN: 0
; COMPUTE_PGM_RSRC2:TIDIG_COMP_CNT: 0
	.text
	.p2alignl 7, 3214868480
	.fill 96, 4, 3214868480
	.type	__hip_cuid_d04ea4b275504992,@object ; @__hip_cuid_d04ea4b275504992
	.section	.bss,"aw",@nobits
	.globl	__hip_cuid_d04ea4b275504992
__hip_cuid_d04ea4b275504992:
	.byte	0                               ; 0x0
	.size	__hip_cuid_d04ea4b275504992, 1

	.ident	"AMD clang version 19.0.0git (https://github.com/RadeonOpenCompute/llvm-project roc-6.4.0 25133 c7fe45cf4b819c5991fe208aaa96edf142730f1d)"
	.section	".note.GNU-stack","",@progbits
	.addrsig
	.addrsig_sym __hip_cuid_d04ea4b275504992
	.amdgpu_metadata
---
amdhsa.kernels:
  - .args:
      - .address_space:  global
        .offset:         0
        .size:           8
        .value_kind:     global_buffer
      - .address_space:  global
        .offset:         8
        .size:           8
        .value_kind:     global_buffer
      - .offset:         16
        .size:           1
        .value_kind:     by_value
      - .offset:         24
        .size:           4
        .value_kind:     hidden_block_count_x
      - .offset:         28
        .size:           4
        .value_kind:     hidden_block_count_y
      - .offset:         32
        .size:           4
        .value_kind:     hidden_block_count_z
      - .offset:         36
        .size:           2
        .value_kind:     hidden_group_size_x
      - .offset:         38
        .size:           2
        .value_kind:     hidden_group_size_y
      - .offset:         40
        .size:           2
        .value_kind:     hidden_group_size_z
      - .offset:         42
        .size:           2
        .value_kind:     hidden_remainder_x
      - .offset:         44
        .size:           2
        .value_kind:     hidden_remainder_y
      - .offset:         46
        .size:           2
        .value_kind:     hidden_remainder_z
      - .offset:         64
        .size:           8
        .value_kind:     hidden_global_offset_x
      - .offset:         72
        .size:           8
        .value_kind:     hidden_global_offset_y
      - .offset:         80
        .size:           8
        .value_kind:     hidden_global_offset_z
      - .offset:         88
        .size:           2
        .value_kind:     hidden_grid_dims
    .group_segment_fixed_size: 512
    .kernarg_segment_align: 8
    .kernarg_segment_size: 280
    .language:       OpenCL C
    .language_version:
      - 2
      - 0
    .max_flat_workgroup_size: 1024
    .name:           _Z18BlockAdjDiffKernelILi64EEvPKiPib
    .private_segment_fixed_size: 0
    .sgpr_count:     18
    .sgpr_spill_count: 0
    .symbol:         _Z18BlockAdjDiffKernelILi64EEvPKiPib.kd
    .uniform_work_group_size: 1
    .uses_dynamic_stack: false
    .vgpr_count:     12
    .vgpr_spill_count: 0
    .wavefront_size: 32
    .workgroup_processor_mode: 1
  - .args:
      - .address_space:  global
        .offset:         0
        .size:           8
        .value_kind:     global_buffer
      - .address_space:  global
        .offset:         8
        .size:           8
        .value_kind:     global_buffer
      - .offset:         16
        .size:           1
        .value_kind:     by_value
      - .offset:         24
        .size:           4
        .value_kind:     hidden_block_count_x
      - .offset:         28
        .size:           4
        .value_kind:     hidden_block_count_y
      - .offset:         32
        .size:           4
        .value_kind:     hidden_block_count_z
      - .offset:         36
        .size:           2
        .value_kind:     hidden_group_size_x
      - .offset:         38
        .size:           2
        .value_kind:     hidden_group_size_y
      - .offset:         40
        .size:           2
        .value_kind:     hidden_group_size_z
      - .offset:         42
        .size:           2
        .value_kind:     hidden_remainder_x
      - .offset:         44
        .size:           2
        .value_kind:     hidden_remainder_y
      - .offset:         46
        .size:           2
        .value_kind:     hidden_remainder_z
      - .offset:         64
        .size:           8
        .value_kind:     hidden_global_offset_x
      - .offset:         72
        .size:           8
        .value_kind:     hidden_global_offset_y
      - .offset:         80
        .size:           8
        .value_kind:     hidden_global_offset_z
      - .offset:         88
        .size:           2
        .value_kind:     hidden_grid_dims
    .group_segment_fixed_size: 1024
    .kernarg_segment_align: 8
    .kernarg_segment_size: 280
    .language:       OpenCL C
    .language_version:
      - 2
      - 0
    .max_flat_workgroup_size: 1024
    .name:           _Z18BlockAdjDiffKernelILi128EEvPKiPib
    .private_segment_fixed_size: 0
    .sgpr_count:     18
    .sgpr_spill_count: 0
    .symbol:         _Z18BlockAdjDiffKernelILi128EEvPKiPib.kd
    .uniform_work_group_size: 1
    .uses_dynamic_stack: false
    .vgpr_count:     12
    .vgpr_spill_count: 0
    .wavefront_size: 32
    .workgroup_processor_mode: 1
  - .args:
      - .address_space:  global
        .offset:         0
        .size:           8
        .value_kind:     global_buffer
      - .address_space:  global
        .offset:         8
        .size:           8
        .value_kind:     global_buffer
      - .offset:         16
        .size:           1
        .value_kind:     by_value
      - .offset:         24
        .size:           4
        .value_kind:     hidden_block_count_x
      - .offset:         28
        .size:           4
        .value_kind:     hidden_block_count_y
      - .offset:         32
        .size:           4
        .value_kind:     hidden_block_count_z
      - .offset:         36
        .size:           2
        .value_kind:     hidden_group_size_x
      - .offset:         38
        .size:           2
        .value_kind:     hidden_group_size_y
      - .offset:         40
        .size:           2
        .value_kind:     hidden_group_size_z
      - .offset:         42
        .size:           2
        .value_kind:     hidden_remainder_x
      - .offset:         44
        .size:           2
        .value_kind:     hidden_remainder_y
      - .offset:         46
        .size:           2
        .value_kind:     hidden_remainder_z
      - .offset:         64
        .size:           8
        .value_kind:     hidden_global_offset_x
      - .offset:         72
        .size:           8
        .value_kind:     hidden_global_offset_y
      - .offset:         80
        .size:           8
        .value_kind:     hidden_global_offset_z
      - .offset:         88
        .size:           2
        .value_kind:     hidden_grid_dims
    .group_segment_fixed_size: 2048
    .kernarg_segment_align: 8
    .kernarg_segment_size: 280
    .language:       OpenCL C
    .language_version:
      - 2
      - 0
    .max_flat_workgroup_size: 1024
    .name:           _Z18BlockAdjDiffKernelILi256EEvPKiPib
    .private_segment_fixed_size: 0
    .sgpr_count:     18
    .sgpr_spill_count: 0
    .symbol:         _Z18BlockAdjDiffKernelILi256EEvPKiPib.kd
    .uniform_work_group_size: 1
    .uses_dynamic_stack: false
    .vgpr_count:     12
    .vgpr_spill_count: 0
    .wavefront_size: 32
    .workgroup_processor_mode: 1
  - .args:
      - .address_space:  global
        .offset:         0
        .size:           8
        .value_kind:     global_buffer
      - .address_space:  global
        .offset:         8
        .size:           8
        .value_kind:     global_buffer
      - .offset:         16
        .size:           1
        .value_kind:     by_value
      - .offset:         24
        .size:           4
        .value_kind:     hidden_block_count_x
      - .offset:         28
        .size:           4
        .value_kind:     hidden_block_count_y
      - .offset:         32
        .size:           4
        .value_kind:     hidden_block_count_z
      - .offset:         36
        .size:           2
        .value_kind:     hidden_group_size_x
      - .offset:         38
        .size:           2
        .value_kind:     hidden_group_size_y
      - .offset:         40
        .size:           2
        .value_kind:     hidden_group_size_z
      - .offset:         42
        .size:           2
        .value_kind:     hidden_remainder_x
      - .offset:         44
        .size:           2
        .value_kind:     hidden_remainder_y
      - .offset:         46
        .size:           2
        .value_kind:     hidden_remainder_z
      - .offset:         64
        .size:           8
        .value_kind:     hidden_global_offset_x
      - .offset:         72
        .size:           8
        .value_kind:     hidden_global_offset_y
      - .offset:         80
        .size:           8
        .value_kind:     hidden_global_offset_z
      - .offset:         88
        .size:           2
        .value_kind:     hidden_grid_dims
    .group_segment_fixed_size: 4096
    .kernarg_segment_align: 8
    .kernarg_segment_size: 280
    .language:       OpenCL C
    .language_version:
      - 2
      - 0
    .max_flat_workgroup_size: 1024
    .name:           _Z18BlockAdjDiffKernelILi512EEvPKiPib
    .private_segment_fixed_size: 0
    .sgpr_count:     18
    .sgpr_spill_count: 0
    .symbol:         _Z18BlockAdjDiffKernelILi512EEvPKiPib.kd
    .uniform_work_group_size: 1
    .uses_dynamic_stack: false
    .vgpr_count:     12
    .vgpr_spill_count: 0
    .wavefront_size: 32
    .workgroup_processor_mode: 1
  - .args:
      - .address_space:  global
        .offset:         0
        .size:           8
        .value_kind:     global_buffer
      - .address_space:  global
        .offset:         8
        .size:           8
        .value_kind:     global_buffer
      - .offset:         16
        .size:           1
        .value_kind:     by_value
      - .offset:         24
        .size:           4
        .value_kind:     hidden_block_count_x
      - .offset:         28
        .size:           4
        .value_kind:     hidden_block_count_y
      - .offset:         32
        .size:           4
        .value_kind:     hidden_block_count_z
      - .offset:         36
        .size:           2
        .value_kind:     hidden_group_size_x
      - .offset:         38
        .size:           2
        .value_kind:     hidden_group_size_y
      - .offset:         40
        .size:           2
        .value_kind:     hidden_group_size_z
      - .offset:         42
        .size:           2
        .value_kind:     hidden_remainder_x
      - .offset:         44
        .size:           2
        .value_kind:     hidden_remainder_y
      - .offset:         46
        .size:           2
        .value_kind:     hidden_remainder_z
      - .offset:         64
        .size:           8
        .value_kind:     hidden_global_offset_x
      - .offset:         72
        .size:           8
        .value_kind:     hidden_global_offset_y
      - .offset:         80
        .size:           8
        .value_kind:     hidden_global_offset_z
      - .offset:         88
        .size:           2
        .value_kind:     hidden_grid_dims
    .group_segment_fixed_size: 8192
    .kernarg_segment_align: 8
    .kernarg_segment_size: 280
    .language:       OpenCL C
    .language_version:
      - 2
      - 0
    .max_flat_workgroup_size: 1024
    .name:           _Z18BlockAdjDiffKernelILi1024EEvPKiPib
    .private_segment_fixed_size: 0
    .sgpr_count:     18
    .sgpr_spill_count: 0
    .symbol:         _Z18BlockAdjDiffKernelILi1024EEvPKiPib.kd
    .uniform_work_group_size: 1
    .uses_dynamic_stack: false
    .vgpr_count:     12
    .vgpr_spill_count: 0
    .wavefront_size: 32
    .workgroup_processor_mode: 1
amdhsa.target:   amdgcn-amd-amdhsa--gfx1100
amdhsa.version:
  - 1
  - 2
...

	.end_amdgpu_metadata
